;; amdgpu-corpus repo=ROCm/rocFFT kind=compiled arch=gfx906 opt=O3
	.text
	.amdgcn_target "amdgcn-amd-amdhsa--gfx906"
	.amdhsa_code_object_version 6
	.protected	fft_rtc_back_len1536_factors_16_16_6_wgs_256_tpt_256_halfLds_sp_op_CI_CI_sbrr_dirReg ; -- Begin function fft_rtc_back_len1536_factors_16_16_6_wgs_256_tpt_256_halfLds_sp_op_CI_CI_sbrr_dirReg
	.globl	fft_rtc_back_len1536_factors_16_16_6_wgs_256_tpt_256_halfLds_sp_op_CI_CI_sbrr_dirReg
	.p2align	8
	.type	fft_rtc_back_len1536_factors_16_16_6_wgs_256_tpt_256_halfLds_sp_op_CI_CI_sbrr_dirReg,@function
fft_rtc_back_len1536_factors_16_16_6_wgs_256_tpt_256_halfLds_sp_op_CI_CI_sbrr_dirReg: ; @fft_rtc_back_len1536_factors_16_16_6_wgs_256_tpt_256_halfLds_sp_op_CI_CI_sbrr_dirReg
; %bb.0:
	s_load_dwordx4 s[16:19], s[4:5], 0x18
	s_load_dwordx4 s[12:15], s[4:5], 0x0
	;; [unrolled: 1-line block ×3, first 2 shown]
	v_mov_b32_e32 v3, 0
	v_mov_b32_e32 v1, 0
	s_waitcnt lgkmcnt(0)
	s_load_dwordx2 s[20:21], s[16:17], 0x0
	s_load_dwordx2 s[2:3], s[18:19], 0x0
	v_cmp_lt_u64_e64 s[0:1], s[14:15], 2
	v_mov_b32_e32 v5, s6
	v_mov_b32_e32 v6, v3
	s_and_b64 vcc, exec, s[0:1]
	v_mov_b32_e32 v2, 0
	s_cbranch_vccnz .LBB0_8
; %bb.1:
	s_load_dwordx2 s[0:1], s[4:5], 0x10
	s_add_u32 s6, s18, 8
	s_addc_u32 s7, s19, 0
	s_add_u32 s22, s16, 8
	v_mov_b32_e32 v1, 0
	s_addc_u32 s23, s17, 0
	v_mov_b32_e32 v2, 0
	s_waitcnt lgkmcnt(0)
	s_add_u32 s24, s0, 8
	v_mov_b32_e32 v22, v2
	s_addc_u32 s25, s1, 0
	s_mov_b64 s[26:27], 1
	v_mov_b32_e32 v21, v1
.LBB0_2:                                ; =>This Inner Loop Header: Depth=1
	s_load_dwordx2 s[28:29], s[24:25], 0x0
                                        ; implicit-def: $vgpr23_vgpr24
	s_waitcnt lgkmcnt(0)
	v_or_b32_e32 v4, s29, v6
	v_cmp_ne_u64_e32 vcc, 0, v[3:4]
	s_and_saveexec_b64 s[0:1], vcc
	s_xor_b64 s[30:31], exec, s[0:1]
	s_cbranch_execz .LBB0_4
; %bb.3:                                ;   in Loop: Header=BB0_2 Depth=1
	v_cvt_f32_u32_e32 v4, s28
	v_cvt_f32_u32_e32 v7, s29
	s_sub_u32 s0, 0, s28
	s_subb_u32 s1, 0, s29
	v_mac_f32_e32 v4, 0x4f800000, v7
	v_rcp_f32_e32 v4, v4
	v_mul_f32_e32 v4, 0x5f7ffffc, v4
	v_mul_f32_e32 v7, 0x2f800000, v4
	v_trunc_f32_e32 v7, v7
	v_mac_f32_e32 v4, 0xcf800000, v7
	v_cvt_u32_f32_e32 v7, v7
	v_cvt_u32_f32_e32 v4, v4
	v_mul_lo_u32 v8, s0, v7
	v_mul_hi_u32 v9, s0, v4
	v_mul_lo_u32 v11, s1, v4
	v_mul_lo_u32 v10, s0, v4
	v_add_u32_e32 v8, v9, v8
	v_add_u32_e32 v8, v8, v11
	v_mul_hi_u32 v9, v4, v10
	v_mul_lo_u32 v11, v4, v8
	v_mul_hi_u32 v13, v4, v8
	v_mul_hi_u32 v12, v7, v10
	v_mul_lo_u32 v10, v7, v10
	v_mul_hi_u32 v14, v7, v8
	v_add_co_u32_e32 v9, vcc, v9, v11
	v_addc_co_u32_e32 v11, vcc, 0, v13, vcc
	v_mul_lo_u32 v8, v7, v8
	v_add_co_u32_e32 v9, vcc, v9, v10
	v_addc_co_u32_e32 v9, vcc, v11, v12, vcc
	v_addc_co_u32_e32 v10, vcc, 0, v14, vcc
	v_add_co_u32_e32 v8, vcc, v9, v8
	v_addc_co_u32_e32 v9, vcc, 0, v10, vcc
	v_add_co_u32_e32 v4, vcc, v4, v8
	v_addc_co_u32_e32 v7, vcc, v7, v9, vcc
	v_mul_lo_u32 v8, s0, v7
	v_mul_hi_u32 v9, s0, v4
	v_mul_lo_u32 v10, s1, v4
	v_mul_lo_u32 v11, s0, v4
	v_add_u32_e32 v8, v9, v8
	v_add_u32_e32 v8, v8, v10
	v_mul_lo_u32 v12, v4, v8
	v_mul_hi_u32 v13, v4, v11
	v_mul_hi_u32 v14, v4, v8
	;; [unrolled: 1-line block ×3, first 2 shown]
	v_mul_lo_u32 v11, v7, v11
	v_mul_hi_u32 v9, v7, v8
	v_add_co_u32_e32 v12, vcc, v13, v12
	v_addc_co_u32_e32 v13, vcc, 0, v14, vcc
	v_mul_lo_u32 v8, v7, v8
	v_add_co_u32_e32 v11, vcc, v12, v11
	v_addc_co_u32_e32 v10, vcc, v13, v10, vcc
	v_addc_co_u32_e32 v9, vcc, 0, v9, vcc
	v_add_co_u32_e32 v8, vcc, v10, v8
	v_addc_co_u32_e32 v9, vcc, 0, v9, vcc
	v_add_co_u32_e32 v4, vcc, v4, v8
	v_addc_co_u32_e32 v9, vcc, v7, v9, vcc
	v_mad_u64_u32 v[7:8], s[0:1], v5, v9, 0
	v_mul_hi_u32 v10, v5, v4
	v_add_co_u32_e32 v11, vcc, v10, v7
	v_addc_co_u32_e32 v12, vcc, 0, v8, vcc
	v_mad_u64_u32 v[7:8], s[0:1], v6, v4, 0
	v_mad_u64_u32 v[9:10], s[0:1], v6, v9, 0
	v_add_co_u32_e32 v4, vcc, v11, v7
	v_addc_co_u32_e32 v4, vcc, v12, v8, vcc
	v_addc_co_u32_e32 v7, vcc, 0, v10, vcc
	v_add_co_u32_e32 v4, vcc, v4, v9
	v_addc_co_u32_e32 v9, vcc, 0, v7, vcc
	v_mul_lo_u32 v10, s29, v4
	v_mul_lo_u32 v11, s28, v9
	v_mad_u64_u32 v[7:8], s[0:1], s28, v4, 0
	v_add3_u32 v8, v8, v11, v10
	v_sub_u32_e32 v10, v6, v8
	v_mov_b32_e32 v11, s29
	v_sub_co_u32_e32 v7, vcc, v5, v7
	v_subb_co_u32_e64 v10, s[0:1], v10, v11, vcc
	v_subrev_co_u32_e64 v11, s[0:1], s28, v7
	v_subbrev_co_u32_e64 v10, s[0:1], 0, v10, s[0:1]
	v_cmp_le_u32_e64 s[0:1], s29, v10
	v_cndmask_b32_e64 v12, 0, -1, s[0:1]
	v_cmp_le_u32_e64 s[0:1], s28, v11
	v_cndmask_b32_e64 v11, 0, -1, s[0:1]
	v_cmp_eq_u32_e64 s[0:1], s29, v10
	v_cndmask_b32_e64 v10, v12, v11, s[0:1]
	v_add_co_u32_e64 v11, s[0:1], 2, v4
	v_addc_co_u32_e64 v12, s[0:1], 0, v9, s[0:1]
	v_add_co_u32_e64 v13, s[0:1], 1, v4
	v_addc_co_u32_e64 v14, s[0:1], 0, v9, s[0:1]
	v_subb_co_u32_e32 v8, vcc, v6, v8, vcc
	v_cmp_ne_u32_e64 s[0:1], 0, v10
	v_cmp_le_u32_e32 vcc, s29, v8
	v_cndmask_b32_e64 v10, v14, v12, s[0:1]
	v_cndmask_b32_e64 v12, 0, -1, vcc
	v_cmp_le_u32_e32 vcc, s28, v7
	v_cndmask_b32_e64 v7, 0, -1, vcc
	v_cmp_eq_u32_e32 vcc, s29, v8
	v_cndmask_b32_e32 v7, v12, v7, vcc
	v_cmp_ne_u32_e32 vcc, 0, v7
	v_cndmask_b32_e64 v7, v13, v11, s[0:1]
	v_cndmask_b32_e32 v24, v9, v10, vcc
	v_cndmask_b32_e32 v23, v4, v7, vcc
.LBB0_4:                                ;   in Loop: Header=BB0_2 Depth=1
	s_andn2_saveexec_b64 s[0:1], s[30:31]
	s_cbranch_execz .LBB0_6
; %bb.5:                                ;   in Loop: Header=BB0_2 Depth=1
	v_cvt_f32_u32_e32 v4, s28
	s_sub_i32 s30, 0, s28
	v_mov_b32_e32 v24, v3
	v_rcp_iflag_f32_e32 v4, v4
	v_mul_f32_e32 v4, 0x4f7ffffe, v4
	v_cvt_u32_f32_e32 v4, v4
	v_mul_lo_u32 v7, s30, v4
	v_mul_hi_u32 v7, v4, v7
	v_add_u32_e32 v4, v4, v7
	v_mul_hi_u32 v4, v5, v4
	v_mul_lo_u32 v7, v4, s28
	v_add_u32_e32 v8, 1, v4
	v_sub_u32_e32 v7, v5, v7
	v_subrev_u32_e32 v9, s28, v7
	v_cmp_le_u32_e32 vcc, s28, v7
	v_cndmask_b32_e32 v7, v7, v9, vcc
	v_cndmask_b32_e32 v4, v4, v8, vcc
	v_add_u32_e32 v8, 1, v4
	v_cmp_le_u32_e32 vcc, s28, v7
	v_cndmask_b32_e32 v23, v4, v8, vcc
.LBB0_6:                                ;   in Loop: Header=BB0_2 Depth=1
	s_or_b64 exec, exec, s[0:1]
	v_mul_lo_u32 v4, v24, s28
	v_mul_lo_u32 v9, v23, s29
	v_mad_u64_u32 v[7:8], s[0:1], v23, s28, 0
	s_load_dwordx2 s[0:1], s[22:23], 0x0
	s_load_dwordx2 s[28:29], s[6:7], 0x0
	v_add3_u32 v4, v8, v9, v4
	v_sub_co_u32_e32 v5, vcc, v5, v7
	v_subb_co_u32_e32 v4, vcc, v6, v4, vcc
	s_waitcnt lgkmcnt(0)
	v_mul_lo_u32 v6, s0, v4
	v_mul_lo_u32 v7, s1, v5
	v_mad_u64_u32 v[1:2], s[0:1], s0, v5, v[1:2]
	v_mul_lo_u32 v4, s28, v4
	v_mul_lo_u32 v8, s29, v5
	v_mad_u64_u32 v[21:22], s[0:1], s28, v5, v[21:22]
	s_add_u32 s26, s26, 1
	s_addc_u32 s27, s27, 0
	s_add_u32 s6, s6, 8
	v_add3_u32 v22, v8, v22, v4
	s_addc_u32 s7, s7, 0
	v_mov_b32_e32 v4, s14
	s_add_u32 s22, s22, 8
	v_mov_b32_e32 v5, s15
	s_addc_u32 s23, s23, 0
	v_cmp_ge_u64_e32 vcc, s[26:27], v[4:5]
	s_add_u32 s24, s24, 8
	v_add3_u32 v2, v7, v2, v6
	s_addc_u32 s25, s25, 0
	s_cbranch_vccnz .LBB0_9
; %bb.7:                                ;   in Loop: Header=BB0_2 Depth=1
	v_mov_b32_e32 v5, v23
	v_mov_b32_e32 v6, v24
	s_branch .LBB0_2
.LBB0_8:
	v_mov_b32_e32 v22, v2
	v_mov_b32_e32 v24, v6
	;; [unrolled: 1-line block ×4, first 2 shown]
.LBB0_9:
	s_lshl_b64 s[22:23], s[14:15], 3
	s_load_dwordx2 s[0:1], s[4:5], 0x28
	s_add_u32 s4, s18, s22
	s_addc_u32 s5, s19, s23
	s_load_dwordx2 s[4:5], s[4:5], 0x0
	v_mov_b32_e32 v5, 0
	s_waitcnt lgkmcnt(0)
	v_cmp_gt_u64_e32 vcc, s[0:1], v[23:24]
	v_mov_b32_e32 v41, 0
	v_mov_b32_e32 v4, 0
	;; [unrolled: 1-line block ×16, first 2 shown]
                                        ; implicit-def: $vgpr13
                                        ; implicit-def: $vgpr36
                                        ; implicit-def: $vgpr40
                                        ; implicit-def: $vgpr19
                                        ; implicit-def: $vgpr34
                                        ; implicit-def: $vgpr32
                                        ; implicit-def: $vgpr38
                                        ; implicit-def: $vgpr30
	s_and_saveexec_b64 s[6:7], vcc
	s_cbranch_execz .LBB0_13
; %bb.10:
	s_movk_i32 s0, 0x60
	v_cmp_gt_u32_e64 s[0:1], s0, v0
	v_mov_b32_e32 v8, 0
	v_mov_b32_e32 v9, 0
	;; [unrolled: 1-line block ×16, first 2 shown]
                                        ; implicit-def: $vgpr29
                                        ; implicit-def: $vgpr37
                                        ; implicit-def: $vgpr31
                                        ; implicit-def: $vgpr33
                                        ; implicit-def: $vgpr18
                                        ; implicit-def: $vgpr39
                                        ; implicit-def: $vgpr35
                                        ; implicit-def: $vgpr12
	s_and_saveexec_b64 s[14:15], s[0:1]
	s_cbranch_execz .LBB0_12
; %bb.11:
	s_add_u32 s0, s16, s22
	s_addc_u32 s1, s17, s23
	s_load_dwordx2 s[0:1], s[0:1], 0x0
	v_mad_u64_u32 v[3:4], s[16:17], s20, v0, 0
	v_lshlrev_b64 v[1:2], 3, v[1:2]
	s_waitcnt lgkmcnt(0)
	v_mul_lo_u32 v9, s1, v23
	v_mul_lo_u32 v10, s0, v24
	v_mad_u64_u32 v[5:6], s[0:1], s0, v23, 0
	v_mad_u64_u32 v[7:8], s[0:1], s21, v0, v[4:5]
	v_add3_u32 v6, v6, v10, v9
	v_lshlrev_b64 v[5:6], 3, v[5:6]
	v_mov_b32_e32 v4, v7
	v_mov_b32_e32 v7, s9
	v_add_co_u32_e64 v8, s[0:1], s8, v5
	v_add_u32_e32 v9, 0x60, v0
	v_addc_co_u32_e64 v7, s[0:1], v7, v6, s[0:1]
	v_mad_u64_u32 v[5:6], s[0:1], s20, v9, 0
	v_add_co_u32_e64 v11, s[0:1], v8, v1
	v_addc_co_u32_e64 v12, s[0:1], v7, v2, s[0:1]
	v_lshlrev_b64 v[1:2], 3, v[3:4]
	v_mov_b32_e32 v3, v6
	v_mad_u64_u32 v[3:4], s[0:1], s21, v9, v[3:4]
	v_add_u32_e32 v9, 0xc0, v0
	v_mad_u64_u32 v[7:8], s[0:1], s20, v9, 0
	v_mov_b32_e32 v6, v3
	v_add_co_u32_e64 v1, s[0:1], v11, v1
	v_lshlrev_b64 v[3:4], 3, v[5:6]
	v_mov_b32_e32 v5, v8
	v_addc_co_u32_e64 v2, s[0:1], v12, v2, s[0:1]
	v_mad_u64_u32 v[5:6], s[0:1], s21, v9, v[5:6]
	v_add_u32_e32 v6, 0x120, v0
	v_mad_u64_u32 v[9:10], s[0:1], s20, v6, 0
	v_add_co_u32_e64 v29, s[0:1], v11, v3
	v_mov_b32_e32 v8, v5
	v_mov_b32_e32 v5, v10
	v_addc_co_u32_e64 v30, s[0:1], v12, v4, s[0:1]
	v_lshlrev_b64 v[3:4], 3, v[7:8]
	v_mad_u64_u32 v[5:6], s[0:1], s21, v6, v[5:6]
	v_or_b32_e32 v8, 0x180, v0
	v_mad_u64_u32 v[6:7], s[0:1], s20, v8, 0
	v_add_co_u32_e64 v31, s[0:1], v11, v3
	v_mov_b32_e32 v10, v5
	v_mov_b32_e32 v5, v7
	v_addc_co_u32_e64 v32, s[0:1], v12, v4, s[0:1]
	v_lshlrev_b64 v[3:4], 3, v[9:10]
	v_mad_u64_u32 v[7:8], s[0:1], s21, v8, v[5:6]
	v_add_u32_e32 v10, 0x1e0, v0
	v_mad_u64_u32 v[8:9], s[0:1], s20, v10, 0
	v_add_co_u32_e64 v37, s[0:1], v11, v3
	v_mov_b32_e32 v5, v9
	v_addc_co_u32_e64 v38, s[0:1], v12, v4, s[0:1]
	v_lshlrev_b64 v[3:4], 3, v[6:7]
	v_mad_u64_u32 v[5:6], s[0:1], s21, v10, v[5:6]
	v_add_u32_e32 v10, 0x240, v0
	v_mad_u64_u32 v[6:7], s[0:1], s20, v10, 0
	v_add_co_u32_e64 v41, s[0:1], v11, v3
	v_mov_b32_e32 v9, v5
	v_mov_b32_e32 v5, v7
	v_addc_co_u32_e64 v42, s[0:1], v12, v4, s[0:1]
	v_lshlrev_b64 v[3:4], 3, v[8:9]
	v_mad_u64_u32 v[7:8], s[0:1], s21, v10, v[5:6]
	v_add_u32_e32 v10, 0x2a0, v0
	v_mad_u64_u32 v[8:9], s[0:1], s20, v10, 0
	v_add_co_u32_e64 v43, s[0:1], v11, v3
	v_mov_b32_e32 v5, v9
	v_addc_co_u32_e64 v44, s[0:1], v12, v4, s[0:1]
	v_lshlrev_b64 v[3:4], 3, v[6:7]
	v_mad_u64_u32 v[5:6], s[0:1], s21, v10, v[5:6]
	v_or_b32_e32 v10, 0x300, v0
	v_mad_u64_u32 v[6:7], s[0:1], s20, v10, 0
	v_add_co_u32_e64 v45, s[0:1], v11, v3
	v_mov_b32_e32 v9, v5
	v_mov_b32_e32 v5, v7
	v_addc_co_u32_e64 v46, s[0:1], v12, v4, s[0:1]
	v_lshlrev_b64 v[3:4], 3, v[8:9]
	v_mad_u64_u32 v[7:8], s[0:1], s21, v10, v[5:6]
	v_add_u32_e32 v10, 0x360, v0
	v_mad_u64_u32 v[8:9], s[0:1], s20, v10, 0
	v_add_co_u32_e64 v47, s[0:1], v11, v3
	v_mov_b32_e32 v5, v9
	v_addc_co_u32_e64 v48, s[0:1], v12, v4, s[0:1]
	v_lshlrev_b64 v[3:4], 3, v[6:7]
	v_mad_u64_u32 v[5:6], s[0:1], s21, v10, v[5:6]
	v_add_u32_e32 v10, 0x3c0, v0
	v_mad_u64_u32 v[6:7], s[0:1], s20, v10, 0
	v_add_co_u32_e64 v49, s[0:1], v11, v3
	v_mov_b32_e32 v9, v5
	v_mov_b32_e32 v5, v7
	v_addc_co_u32_e64 v50, s[0:1], v12, v4, s[0:1]
	v_lshlrev_b64 v[3:4], 3, v[8:9]
	v_mad_u64_u32 v[7:8], s[0:1], s21, v10, v[5:6]
	v_add_u32_e32 v10, 0x420, v0
	v_mad_u64_u32 v[8:9], s[0:1], s20, v10, 0
	v_add_co_u32_e64 v51, s[0:1], v11, v3
	v_mov_b32_e32 v5, v9
	v_addc_co_u32_e64 v52, s[0:1], v12, v4, s[0:1]
	v_lshlrev_b64 v[3:4], 3, v[6:7]
	v_mad_u64_u32 v[5:6], s[0:1], s21, v10, v[5:6]
	v_or_b32_e32 v10, 0x480, v0
	v_mad_u64_u32 v[6:7], s[0:1], s20, v10, 0
	v_add_co_u32_e64 v53, s[0:1], v11, v3
	v_mov_b32_e32 v9, v5
	v_mov_b32_e32 v5, v7
	v_addc_co_u32_e64 v54, s[0:1], v12, v4, s[0:1]
	v_lshlrev_b64 v[3:4], 3, v[8:9]
	v_mad_u64_u32 v[7:8], s[0:1], s21, v10, v[5:6]
	v_add_u32_e32 v10, 0x4e0, v0
	v_mad_u64_u32 v[8:9], s[0:1], s20, v10, 0
	v_add_co_u32_e64 v55, s[0:1], v11, v3
	v_mov_b32_e32 v5, v9
	v_addc_co_u32_e64 v56, s[0:1], v12, v4, s[0:1]
	v_lshlrev_b64 v[3:4], 3, v[6:7]
	v_mad_u64_u32 v[5:6], s[0:1], s21, v10, v[5:6]
	v_add_u32_e32 v10, 0x540, v0
	v_mad_u64_u32 v[6:7], s[0:1], s20, v10, 0
	v_add_co_u32_e64 v57, s[0:1], v11, v3
	v_mov_b32_e32 v9, v5
	v_mov_b32_e32 v5, v7
	v_addc_co_u32_e64 v58, s[0:1], v12, v4, s[0:1]
	v_lshlrev_b64 v[3:4], 3, v[8:9]
	v_mad_u64_u32 v[7:8], s[0:1], s21, v10, v[5:6]
	v_add_u32_e32 v10, 0x5a0, v0
	v_mad_u64_u32 v[8:9], s[0:1], s20, v10, 0
	v_add_co_u32_e64 v59, s[0:1], v11, v3
	v_mov_b32_e32 v5, v9
	v_addc_co_u32_e64 v60, s[0:1], v12, v4, s[0:1]
	v_lshlrev_b64 v[3:4], 3, v[6:7]
	v_mad_u64_u32 v[5:6], s[0:1], s21, v10, v[5:6]
	v_add_co_u32_e64 v61, s[0:1], v11, v3
	v_mov_b32_e32 v9, v5
	v_addc_co_u32_e64 v62, s[0:1], v12, v4, s[0:1]
	v_lshlrev_b64 v[3:4], 3, v[8:9]
	v_add_co_u32_e64 v63, s[0:1], v11, v3
	v_addc_co_u32_e64 v64, s[0:1], v12, v4, s[0:1]
	global_load_dwordx2 v[4:5], v[1:2], off
	global_load_dwordx2 v[14:15], v[29:30], off
	global_load_dwordx2 v[25:26], v[31:32], off
	global_load_dwordx2 v[10:11], v[37:38], off
	global_load_dwordx2 v[6:7], v[41:42], off
	global_load_dwordx2 v[16:17], v[43:44], off
	global_load_dwordx2 v[27:28], v[45:46], off
	global_load_dwordx2 v[8:9], v[47:48], off
	global_load_dwordx2 v[12:13], v[49:50], off
	global_load_dwordx2 v[35:36], v[51:52], off
	global_load_dwordx2 v[39:40], v[53:54], off
	global_load_dwordx2 v[18:19], v[55:56], off
	global_load_dwordx2 v[33:34], v[57:58], off
                                        ; kill: killed $vgpr37 killed $vgpr38
                                        ; kill: killed $vgpr53 killed $vgpr54
                                        ; kill: killed $vgpr43 killed $vgpr44
                                        ; kill: killed $vgpr1 killed $vgpr2
                                        ; kill: killed $vgpr57 killed $vgpr58
                                        ; kill: killed $vgpr47 killed $vgpr48
                                        ; kill: killed $vgpr31 killed $vgpr32
                                        ; kill: killed $vgpr51 killed $vgpr52
                                        ; kill: killed $vgpr41 killed $vgpr42
                                        ; kill: killed $vgpr55 killed $vgpr56
                                        ; kill: killed $vgpr45 killed $vgpr46
                                        ; kill: killed $vgpr29 killed $vgpr30
                                        ; kill: killed $vgpr49 killed $vgpr50
	global_load_dwordx2 v[31:32], v[59:60], off
	global_load_dwordx2 v[37:38], v[61:62], off
	;; [unrolled: 1-line block ×3, first 2 shown]
.LBB0_12:
	s_or_b64 exec, exec, s[14:15]
	v_mov_b32_e32 v41, v0
.LBB0_13:
	s_or_b64 exec, exec, s[6:7]
	s_waitcnt vmcnt(3)
	v_sub_f32_e32 v20, v6, v33
	v_sub_f32_e32 v43, v7, v34
	;; [unrolled: 1-line block ×6, first 2 shown]
	v_fma_f32 v12, v25, 2.0, -v3
	s_waitcnt vmcnt(1)
	v_sub_f32_e32 v25, v27, v37
	v_fma_f32 v35, v14, 2.0, -v33
	v_fma_f32 v37, v15, 2.0, -v34
	v_sub_f32_e32 v14, v16, v31
	v_sub_f32_e32 v15, v17, v32
	v_fma_f32 v31, v16, 2.0, -v14
	v_fma_f32 v32, v17, 2.0, -v15
	v_sub_f32_e32 v16, v10, v18
	v_sub_f32_e32 v17, v11, v19
	s_waitcnt vmcnt(0)
	v_sub_f32_e32 v18, v8, v29
	v_sub_f32_e32 v19, v9, v30
	;; [unrolled: 1-line block ×3, first 2 shown]
	v_fma_f32 v8, v8, 2.0, -v18
	v_add_f32_e32 v29, v33, v15
	v_fma_f32 v34, v34, 2.0, -v30
	v_sub_f32_e32 v18, v17, v18
	v_fma_f32 v11, v11, 2.0, -v17
	v_fma_f32 v9, v9, 2.0, -v19
	v_fma_f32 v33, v33, 2.0, -v29
	v_add_f32_e32 v19, v16, v19
	v_fma_f32 v17, v17, 2.0, -v18
	v_mov_b32_e32 v15, v34
	v_fma_f32 v10, v10, 2.0, -v16
	v_fma_f32 v16, v16, 2.0, -v19
	v_mov_b32_e32 v14, v33
	v_fmac_f32_e32 v15, 0xbf3504f3, v17
	v_mov_b32_e32 v36, v30
	v_fma_f32 v2, v4, 2.0, -v1
	v_sub_f32_e32 v4, v26, v40
	v_fmac_f32_e32 v14, 0xbf3504f3, v16
	v_fmac_f32_e32 v15, 0xbf3504f3, v16
	v_mov_b32_e32 v16, v29
	v_fmac_f32_e32 v36, 0x3f3504f3, v18
	v_fma_f32 v39, v26, 2.0, -v4
	v_sub_f32_e32 v26, v28, v38
	v_fmac_f32_e32 v16, 0x3f3504f3, v19
	v_fmac_f32_e32 v36, 0xbf3504f3, v19
	v_add_f32_e32 v19, v1, v43
	v_fma_f32 v27, v27, 2.0, -v25
	v_fma_f32 v6, v6, 2.0, -v20
	;; [unrolled: 1-line block ×3, first 2 shown]
	v_add_f32_e32 v38, v3, v26
	v_sub_f32_e32 v44, v2, v6
	v_sub_f32_e32 v6, v12, v27
	;; [unrolled: 1-line block ×3, first 2 shown]
	v_fma_f32 v42, v3, 2.0, -v38
	v_sub_f32_e32 v3, v35, v31
	v_sub_f32_e32 v31, v10, v8
	v_mov_b32_e32 v47, v1
	v_fma_f32 v2, v2, 2.0, -v44
	v_fma_f32 v12, v12, 2.0, -v6
	;; [unrolled: 1-line block ×5, first 2 shown]
	v_fmac_f32_e32 v47, 0xbf3504f3, v42
	v_fma_f32 v28, v28, 2.0, -v26
	v_fmac_f32_e32 v14, 0x3f3504f3, v17
	v_sub_f32_e32 v12, v2, v12
	v_fmac_f32_e32 v47, 0x3f3504f3, v45
	v_sub_f32_e32 v17, v4, v8
	v_fma_f32 v10, v2, 2.0, -v12
	v_fma_f32 v26, v1, 2.0, -v47
	;; [unrolled: 1-line block ×3, first 2 shown]
	v_sub_f32_e32 v28, v39, v28
	v_sub_f32_e32 v1, v10, v1
	;; [unrolled: 1-line block ×3, first 2 shown]
	v_add_f32_e32 v48, v44, v28
	v_fma_f32 v25, v10, 2.0, -v1
	v_sub_f32_e32 v4, v37, v32
	v_fma_f32 v10, v11, 2.0, -v9
	v_fma_f32 v11, v44, 2.0, -v48
	v_mov_b32_e32 v44, v19
	v_add_f32_e32 v46, v3, v9
	v_fma_f32 v27, v37, 2.0, -v4
	v_fmac_f32_e32 v44, 0x3f3504f3, v38
	v_sub_f32_e32 v51, v4, v31
	v_fma_f32 v52, v3, 2.0, -v46
	v_mov_b32_e32 v3, v11
	v_fmac_f32_e32 v44, 0x3f3504f3, v40
	v_fma_f32 v53, v4, 2.0, -v51
	v_fmac_f32_e32 v3, 0xbf3504f3, v52
	v_sub_f32_e32 v37, v27, v10
	v_fmac_f32_e32 v16, 0x3f3504f3, v18
	v_fma_f32 v32, v19, 2.0, -v44
	v_fmac_f32_e32 v3, 0x3f3504f3, v53
	v_add_f32_e32 v9, v12, v37
	v_fma_f32 v8, v33, 2.0, -v14
	v_mov_b32_e32 v2, v26
	v_fma_f32 v19, v29, 2.0, -v16
	v_mov_b32_e32 v4, v32
	;; [unrolled: 2-line block ×4, first 2 shown]
	v_mov_b32_e32 v12, v44
	v_fma_f32 v18, v34, 2.0, -v15
	v_fmac_f32_e32 v2, 0xbf6c835e, v8
	v_fma_f32 v35, v30, 2.0, -v36
	v_fmac_f32_e32 v4, 0xbec3ef15, v19
	v_fmac_f32_e32 v10, 0x3ec3ef15, v14
	;; [unrolled: 1-line block ×9, first 2 shown]
	s_movk_i32 s0, 0x60
	v_fma_f32 v26, v26, 2.0, -v2
	v_fma_f32 v32, v32, 2.0, -v4
	;; [unrolled: 1-line block ×5, first 2 shown]
	v_cmp_gt_u32_e64 s[0:1], s0, v0
	v_lshl_add_u32 v44, v0, 6, 0
	s_and_saveexec_b64 s[6:7], s[0:1]
	s_cbranch_execz .LBB0_15
; %bb.14:
	ds_write2_b64 v44, v[25:26], v[31:32] offset1:1
	ds_write2_b64 v44, v[33:34], v[29:30] offset0:2 offset1:3
	ds_write2_b64 v44, v[1:2], v[3:4] offset0:4 offset1:5
	;; [unrolled: 1-line block ×3, first 2 shown]
.LBB0_15:
	s_or_b64 exec, exec, s[6:7]
	v_mul_f32_e32 v49, 0x3f3504f3, v42
	v_mul_f32_e32 v50, 0x3f3504f3, v45
	;; [unrolled: 1-line block ×8, first 2 shown]
	v_lshl_add_u32 v42, v0, 2, 0
	s_waitcnt lgkmcnt(0)
	s_barrier
	s_and_saveexec_b64 s[6:7], s[0:1]
	s_cbranch_execz .LBB0_17
; %bb.16:
	v_add_u32_e32 v1, 0x200, v42
	ds_read2_b32 v[31:32], v1 offset0:64 offset1:160
	v_add_u32_e32 v1, 0x400, v42
	ds_read2_b32 v[33:34], v1 offset0:128 offset1:224
	;; [unrolled: 2-line block ×5, first 2 shown]
	v_add_u32_e32 v1, 0x1200, v42
	ds_read2_b32 v[25:26], v42 offset1:96
	ds_read2_b32 v[10:11], v1 offset0:96 offset1:192
	ds_read_b32 v1, v42 offset:3072
	ds_read_b32 v12, v42 offset:5760
	s_waitcnt lgkmcnt(4)
	v_mov_b32_e32 v4, v51
	v_mov_b32_e32 v9, v52
.LBB0_17:
	s_or_b64 exec, exec, s[6:7]
	v_sub_f32_e32 v13, v5, v13
	v_fma_f32 v5, v5, 2.0, -v13
	v_fma_f32 v7, v7, 2.0, -v43
	v_sub_f32_e32 v7, v5, v7
	v_fma_f32 v5, v5, 2.0, -v7
	v_sub_f32_e32 v20, v13, v20
	v_fma_f32 v28, v39, 2.0, -v28
	v_fma_f32 v13, v13, 2.0, -v20
	v_sub_f32_e32 v39, v5, v28
	v_fma_f32 v28, v5, 2.0, -v39
	v_sub_f32_e32 v5, v13, v50
	v_sub_f32_e32 v43, v5, v49
	v_fma_f32 v13, v13, 2.0, -v43
	v_add_f32_e32 v5, v20, v48
	v_sub_f32_e32 v49, v7, v6
	v_sub_f32_e32 v47, v5, v47
	v_mov_b32_e32 v6, v13
	v_fma_f32 v20, v20, 2.0, -v47
	v_fmac_f32_e32 v6, 0xbf6c835e, v18
	v_fmac_f32_e32 v6, 0xbec3ef15, v8
	v_mov_b32_e32 v8, v20
	v_fma_f32 v50, v7, 2.0, -v49
	v_fmac_f32_e32 v8, 0xbec3ef15, v35
	v_fma_f32 v5, v27, 2.0, -v37
	v_sub_f32_e32 v7, v50, v40
	v_fmac_f32_e32 v8, 0xbf6c835e, v19
	v_sub_f32_e32 v5, v28, v5
	v_sub_f32_e32 v7, v7, v38
	v_fma_f32 v38, v20, 2.0, -v8
	v_mov_b32_e32 v18, v43
	v_mov_b32_e32 v20, v47
	v_fma_f32 v27, v28, 2.0, -v5
	v_fma_f32 v28, v13, 2.0, -v6
	v_fmac_f32_e32 v18, 0x3ec3ef15, v15
	v_add_f32_e32 v13, v49, v46
	v_fmac_f32_e32 v20, 0x3f6c835e, v36
	v_sub_f32_e32 v17, v39, v17
	v_fmac_f32_e32 v18, 0xbf6c835e, v14
	v_sub_f32_e32 v19, v13, v45
	v_fmac_f32_e32 v20, 0xbec3ef15, v16
	v_fma_f32 v37, v50, 2.0, -v7
	v_fma_f32 v39, v39, 2.0, -v17
	;; [unrolled: 1-line block ×5, first 2 shown]
	s_waitcnt lgkmcnt(0)
	s_barrier
	s_and_saveexec_b64 s[6:7], s[0:1]
	s_cbranch_execz .LBB0_19
; %bb.18:
	ds_write2_b64 v44, v[27:28], v[37:38] offset1:1
	ds_write2_b64 v44, v[39:40], v[35:36] offset0:2 offset1:3
	ds_write2_b64 v44, v[5:6], v[7:8] offset0:4 offset1:5
	;; [unrolled: 1-line block ×3, first 2 shown]
.LBB0_19:
	s_or_b64 exec, exec, s[6:7]
	s_waitcnt lgkmcnt(0)
	s_barrier
	s_and_saveexec_b64 s[6:7], s[0:1]
	s_cbranch_execz .LBB0_21
; %bb.20:
	v_add_u32_e32 v5, 0x200, v42
	ds_read2_b32 v[37:38], v5 offset0:64 offset1:160
	v_add_u32_e32 v5, 0x400, v42
	ds_read2_b32 v[39:40], v5 offset0:128 offset1:224
	;; [unrolled: 2-line block ×5, first 2 shown]
	v_add_u32_e32 v5, 0x1200, v42
	ds_read2_b32 v[27:28], v42 offset1:96
	ds_read2_b32 v[18:19], v5 offset0:96 offset1:192
	ds_read_b32 v5, v42 offset:3072
	ds_read_b32 v20, v42 offset:5760
	s_waitcnt lgkmcnt(4)
	v_mov_b32_e32 v8, v13
	v_mov_b32_e32 v17, v14
.LBB0_21:
	s_or_b64 exec, exec, s[6:7]
	v_and_b32_e32 v43, 15, v0
	v_mul_u32_u24_e32 v13, 15, v43
	v_lshlrev_b32_e32 v60, 3, v13
	global_load_dwordx4 v[13:16], v60, s[12:13]
	global_load_dwordx4 v[44:47], v60, s[12:13] offset:16
	global_load_dwordx4 v[48:51], v60, s[12:13] offset:32
	;; [unrolled: 1-line block ×4, first 2 shown]
	s_waitcnt vmcnt(4) lgkmcnt(3)
	v_mul_f32_e32 v61, v28, v14
	v_mul_f32_e32 v14, v26, v14
	;; [unrolled: 1-line block ×4, first 2 shown]
	v_fmac_f32_e32 v61, v26, v13
	s_waitcnt vmcnt(3)
	v_mul_f32_e32 v26, v32, v45
	v_fma_f32 v63, v28, v13, -v14
	v_fmac_f32_e32 v62, v31, v15
	v_fma_f32 v37, v37, v15, -v16
	global_load_dwordx4 v[13:16], v60, s[12:13] offset:48
	v_mul_f32_e32 v64, v38, v45
	v_mul_f32_e32 v28, v39, v47
	v_fma_f32 v38, v38, v44, -v26
	v_mul_f32_e32 v26, v33, v47
	v_fmac_f32_e32 v64, v32, v44
	v_fmac_f32_e32 v28, v33, v46
	v_fma_f32 v26, v39, v46, -v26
	global_load_dwordx4 v[44:47], v60, s[12:13] offset:96
	global_load_dwordx2 v[31:32], v60, s[12:13] offset:112
	s_waitcnt vmcnt(5)
	v_mul_f32_e32 v33, v40, v49
	v_fmac_f32_e32 v33, v34, v48
	v_mul_f32_e32 v34, v34, v49
	v_fma_f32 v34, v40, v48, -v34
	v_mul_f32_e32 v39, v35, v51
	v_mul_f32_e32 v40, v29, v51
	v_fmac_f32_e32 v39, v29, v50
	v_fma_f32 v29, v35, v50, -v40
	s_waitcnt vmcnt(3)
	v_mul_f32_e32 v35, v6, v57
	v_mul_f32_e32 v40, v2, v57
	;; [unrolled: 1-line block ×4, first 2 shown]
	v_fmac_f32_e32 v35, v2, v56
	v_fma_f32 v2, v6, v56, -v40
	v_mul_f32_e32 v40, v17, v55
	v_fmac_f32_e32 v48, v3, v58
	v_fma_f32 v3, v7, v58, -v49
	v_mul_f32_e32 v6, v8, v53
	v_mul_f32_e32 v49, v9, v55
	v_fmac_f32_e32 v40, v9, v54
	v_mul_f32_e32 v7, v4, v53
	v_fmac_f32_e32 v6, v4, v52
	v_fma_f32 v7, v8, v52, -v7
	v_fma_f32 v8, v17, v54, -v49
	v_sub_f32_e32 v3, v37, v3
	v_sub_f32_e32 v6, v64, v6
	;; [unrolled: 1-line block ×3, first 2 shown]
	v_fma_f32 v38, v38, 2.0, -v7
	s_waitcnt vmcnt(0) lgkmcnt(0)
	s_barrier
	v_mul_f32_e32 v9, v36, v14
	v_mul_f32_e32 v4, v30, v14
	v_fmac_f32_e32 v9, v30, v13
	v_fma_f32 v13, v36, v13, -v4
	v_mul_f32_e32 v30, v19, v47
	v_mul_f32_e32 v14, v18, v45
	;; [unrolled: 1-line block ×6, first 2 shown]
	v_fmac_f32_e32 v30, v11, v46
	v_fmac_f32_e32 v14, v10, v44
	v_fma_f32 v17, v18, v44, -v17
	v_fma_f32 v11, v19, v46, -v45
	v_fmac_f32_e32 v36, v12, v31
	v_fma_f32 v12, v20, v31, -v4
	v_sub_f32_e32 v18, v39, v30
	v_sub_f32_e32 v20, v29, v11
	;; [unrolled: 1-line block ×4, first 2 shown]
	v_fma_f32 v14, v39, 2.0, -v18
	v_sub_f32_e32 v36, v9, v36
	v_sub_f32_e32 v39, v13, v12
	;; [unrolled: 1-line block ×4, first 2 shown]
	v_fma_f32 v11, v37, 2.0, -v3
	v_fma_f32 v19, v29, 2.0, -v20
	;; [unrolled: 1-line block ×7, first 2 shown]
	v_sub_f32_e32 v10, v26, v8
	v_sub_f32_e32 v8, v62, v48
	;; [unrolled: 1-line block ×4, first 2 shown]
	v_add_f32_e32 v46, v30, v17
	v_sub_f32_e32 v32, v31, v32
	v_sub_f32_e32 v9, v37, v9
	;; [unrolled: 1-line block ×4, first 2 shown]
	v_fma_f32 v35, v63, 2.0, -v31
	v_fma_f32 v40, v3, 2.0, -v18
	;; [unrolled: 1-line block ×7, first 2 shown]
	v_add_f32_e32 v38, v6, v39
	v_fma_f32 v34, v34, 2.0, -v17
	v_sub_f32_e32 v36, v7, v36
	v_fma_f32 v6, v6, 2.0, -v38
	v_sub_f32_e32 v17, v3, v13
	v_mov_b32_e32 v13, v29
	v_fma_f32 v7, v7, 2.0, -v36
	v_fmac_f32_e32 v13, 0xbf3504f3, v6
	v_fma_f32 v2, v62, 2.0, -v8
	v_add_f32_e32 v20, v8, v20
	v_sub_f32_e32 v45, v35, v34
	v_mul_f32_e32 v33, 0x3f3504f3, v18
	v_mov_b32_e32 v18, v47
	v_fmac_f32_e32 v13, 0x3f3504f3, v7
	v_sub_f32_e32 v12, v2, v14
	v_fma_f32 v8, v8, 2.0, -v20
	v_fma_f32 v14, v35, 2.0, -v45
	v_mul_f32_e32 v30, 0x3f3504f3, v20
	v_fmac_f32_e32 v18, 0xbf3504f3, v7
	v_fma_f32 v35, v29, 2.0, -v13
	v_mov_b32_e32 v20, v46
	v_mov_b32_e32 v29, v32
	v_fmac_f32_e32 v18, 0xbf3504f3, v6
	v_add_f32_e32 v6, v44, v48
	v_sub_f32_e32 v7, v45, v9
	v_fmac_f32_e32 v20, 0x3f3504f3, v38
	v_fmac_f32_e32 v29, 0x3f3504f3, v36
	v_mul_f32_e32 v34, 0x3f3504f3, v8
	v_fma_f32 v8, v44, 2.0, -v6
	v_fma_f32 v9, v45, 2.0, -v7
	v_fmac_f32_e32 v20, 0x3f3504f3, v36
	v_fmac_f32_e32 v29, 0xbf3504f3, v38
	v_sub_f32_e32 v19, v11, v19
	v_mul_f32_e32 v37, 0x3f3504f3, v40
	v_sub_f32_e32 v31, v14, v31
	v_fma_f32 v39, v47, 2.0, -v18
	v_fma_f32 v40, v46, 2.0, -v20
	;; [unrolled: 1-line block ×3, first 2 shown]
	v_mul_f32_e32 v45, 0x3f3504f3, v8
	v_mul_f32_e32 v46, 0x3f3504f3, v9
	;; [unrolled: 1-line block ×4, first 2 shown]
	v_lshlrev_b32_e32 v32, 4, v0
	s_and_saveexec_b64 s[6:7], s[0:1]
	s_cbranch_execz .LBB0_23
; %bb.22:
	v_mul_f32_e32 v6, v5, v16
	v_fmac_f32_e32 v6, v1, v15
	v_sub_f32_e32 v6, v25, v6
	v_add_f32_e32 v7, v6, v10
	v_fma_f32 v25, v25, 2.0, -v6
	v_fma_f32 v6, v6, 2.0, -v7
	v_sub_f32_e32 v51, v6, v34
	v_add_f32_e32 v8, v7, v30
	v_fma_f32 v28, v28, 2.0, -v4
	v_add_f32_e32 v51, v37, v51
	v_add_f32_e32 v8, v33, v8
	v_sub_f32_e32 v28, v25, v28
	v_mov_b32_e32 v52, v51
	v_mov_b32_e32 v9, v8
	v_fmac_f32_e32 v52, 0x3ec3ef15, v13
	v_fma_f32 v25, v25, 2.0, -v28
	v_fma_f32 v2, v2, 2.0, -v12
	v_fmac_f32_e32 v9, 0x3f6c835e, v20
	v_add_f32_e32 v48, v28, v19
	v_fmac_f32_e32 v52, 0x3f6c835e, v18
	v_sub_f32_e32 v2, v25, v2
	v_fma_f32 v6, v6, 2.0, -v51
	v_fmac_f32_e32 v9, 0x3ec3ef15, v29
	v_add_f32_e32 v49, v48, v36
	v_fma_f32 v53, v51, 2.0, -v52
	v_add_f32_e32 v54, v2, v31
	v_fma_f32 v7, v7, 2.0, -v8
	v_mov_b32_e32 v51, v6
	v_fma_f32 v47, v8, 2.0, -v9
	v_add_f32_e32 v49, v38, v49
	v_fma_f32 v55, v2, 2.0, -v54
	v_mov_b32_e32 v8, v7
	v_fma_f32 v28, v28, 2.0, -v48
	v_fmac_f32_e32 v51, 0xbf6c835e, v35
	v_fma_f32 v2, v25, 2.0, -v2
	v_fma_f32 v3, v3, 2.0, -v17
	s_movk_i32 s8, 0x700
	v_fma_f32 v50, v48, 2.0, -v49
	v_fmac_f32_e32 v8, 0xbec3ef15, v40
	v_sub_f32_e32 v48, v28, v45
	v_fmac_f32_e32 v51, 0x3ec3ef15, v39
	v_sub_f32_e32 v3, v2, v3
	v_and_or_b32 v25, v32, s8, v43
	v_fmac_f32_e32 v8, 0x3f6c835e, v44
	v_add_f32_e32 v48, v46, v48
	v_fma_f32 v6, v6, 2.0, -v51
	v_fma_f32 v2, v2, 2.0, -v3
	v_lshl_add_u32 v25, v25, 2, 0
	v_fma_f32 v7, v7, 2.0, -v8
	v_fma_f32 v28, v28, 2.0, -v48
	ds_write2_b32 v25, v2, v6 offset1:16
	ds_write2_b32 v25, v28, v7 offset0:32 offset1:48
	ds_write2_b32 v25, v55, v53 offset0:64 offset1:80
	;; [unrolled: 1-line block ×7, first 2 shown]
.LBB0_23:
	s_or_b64 exec, exec, s[6:7]
	s_waitcnt lgkmcnt(0)
	s_barrier
	ds_read2st64_b32 v[2:3], v42 offset1:4
	ds_read2st64_b32 v[6:7], v42 offset0:8 offset1:12
	ds_read2st64_b32 v[8:9], v42 offset0:16 offset1:20
	s_waitcnt lgkmcnt(0)
	s_barrier
	s_and_saveexec_b64 s[6:7], s[0:1]
	s_cbranch_execz .LBB0_25
; %bb.24:
	v_mul_f32_e32 v1, v1, v16
	v_fma_f32 v1, v5, v15, -v1
	v_sub_f32_e32 v1, v27, v1
	v_sub_f32_e32 v4, v1, v4
	v_fma_f32 v5, v27, 2.0, -v1
	v_fma_f32 v1, v1, 2.0, -v4
	;; [unrolled: 1-line block ×3, first 2 shown]
	v_sub_f32_e32 v15, v1, v37
	v_sub_f32_e32 v10, v5, v10
	;; [unrolled: 1-line block ×3, first 2 shown]
	v_add_f32_e32 v16, v4, v33
	v_fma_f32 v5, v5, 2.0, -v10
	v_fma_f32 v11, v11, 2.0, -v19
	;; [unrolled: 1-line block ×3, first 2 shown]
	v_sub_f32_e32 v16, v16, v30
	v_mov_b32_e32 v27, v15
	v_sub_f32_e32 v11, v5, v11
	v_sub_f32_e32 v12, v10, v12
	v_fma_f32 v4, v4, 2.0, -v16
	v_mov_b32_e32 v19, v1
	v_fmac_f32_e32 v27, 0x3ec3ef15, v18
	v_mov_b32_e32 v18, v16
	v_fma_f32 v5, v5, 2.0, -v11
	v_fma_f32 v10, v10, 2.0, -v12
	;; [unrolled: 1-line block ×3, first 2 shown]
	v_fmac_f32_e32 v19, 0xbf6c835e, v39
	v_mov_b32_e32 v26, v4
	v_fmac_f32_e32 v27, 0xbf6c835e, v13
	v_fmac_f32_e32 v18, 0x3f6c835e, v29
	s_movk_i32 s0, 0x700
	v_sub_f32_e32 v14, v5, v14
	v_fmac_f32_e32 v19, 0xbec3ef15, v35
	v_sub_f32_e32 v25, v10, v46
	v_fmac_f32_e32 v26, 0xbec3ef15, v44
	v_fma_f32 v13, v15, 2.0, -v27
	v_add_f32_e32 v15, v12, v38
	v_fmac_f32_e32 v18, 0xbec3ef15, v20
	v_and_or_b32 v20, v32, s0, v43
	v_fma_f32 v5, v5, 2.0, -v14
	v_fma_f32 v1, v1, 2.0, -v19
	v_sub_f32_e32 v25, v25, v45
	v_fmac_f32_e32 v26, 0xbf6c835e, v40
	v_sub_f32_e32 v17, v11, v17
	v_sub_f32_e32 v15, v15, v36
	v_lshl_add_u32 v20, v20, 2, 0
	v_fma_f32 v10, v10, 2.0, -v25
	v_fma_f32 v4, v4, 2.0, -v26
	;; [unrolled: 1-line block ×5, first 2 shown]
	ds_write2_b32 v20, v5, v1 offset1:16
	ds_write2_b32 v20, v10, v4 offset0:32 offset1:48
	ds_write2_b32 v20, v11, v13 offset0:64 offset1:80
	;; [unrolled: 1-line block ×7, first 2 shown]
.LBB0_25:
	s_or_b64 exec, exec, s[6:7]
	s_waitcnt lgkmcnt(0)
	s_barrier
	s_and_saveexec_b64 s[0:1], vcc
	s_cbranch_execz .LBB0_27
; %bb.26:
	v_mul_u32_u24_e32 v0, 5, v0
	v_lshlrev_b32_e32 v4, 3, v0
	global_load_dwordx4 v[10:13], v4, s[12:13] offset:1920
	global_load_dwordx4 v[14:17], v4, s[12:13] offset:1936
	global_load_dwordx2 v[0:1], v4, s[12:13] offset:1952
	v_mad_u64_u32 v[4:5], s[0:1], s2, v41, 0
	v_mul_lo_u32 v20, s5, v23
	v_mul_lo_u32 v30, s4, v24
	v_mad_u64_u32 v[25:26], s[0:1], s3, v41, v[5:6]
	v_mad_u64_u32 v[18:19], s[0:1], s4, v23, 0
	ds_read2st64_b32 v[23:24], v42 offset1:4
	ds_read2st64_b32 v[26:27], v42 offset0:8 offset1:12
	ds_read2st64_b32 v[28:29], v42 offset0:16 offset1:20
	v_add3_u32 v19, v19, v30, v20
	v_mov_b32_e32 v5, v25
	v_lshlrev_b64 v[4:5], 3, v[4:5]
	s_waitcnt vmcnt(2)
	v_mul_f32_e32 v20, v6, v13
	s_waitcnt vmcnt(1)
	v_mul_f32_e32 v25, v8, v17
	v_mul_f32_e32 v31, v7, v14
	s_waitcnt vmcnt(0)
	v_mul_f32_e32 v32, v9, v0
	v_mul_f32_e32 v7, v7, v15
	;; [unrolled: 1-line block ×3, first 2 shown]
	s_waitcnt lgkmcnt(1)
	v_mul_f32_e32 v13, v26, v13
	s_waitcnt lgkmcnt(0)
	v_mul_f32_e32 v17, v28, v17
	v_mul_f32_e32 v30, v3, v10
	v_mul_f32_e32 v3, v3, v11
	v_fma_f32 v20, v26, v12, -v20
	v_fma_f32 v25, v28, v16, -v25
	v_fmac_f32_e32 v31, v27, v15
	v_fmac_f32_e32 v32, v29, v1
	v_fma_f32 v1, v27, v14, -v7
	v_fma_f32 v0, v29, v0, -v9
	v_fmac_f32_e32 v13, v6, v12
	v_fmac_f32_e32 v17, v8, v16
	v_fmac_f32_e32 v30, v24, v11
	v_fma_f32 v3, v24, v10, -v3
	v_add_f32_e32 v6, v20, v25
	v_add_f32_e32 v8, v31, v32
	;; [unrolled: 1-line block ×3, first 2 shown]
	v_sub_f32_e32 v7, v13, v17
	v_add_f32_e32 v12, v23, v20
	v_add_f32_e32 v14, v13, v17
	v_sub_f32_e32 v15, v20, v25
	v_add_f32_e32 v13, v2, v13
	v_fma_f32 v20, -0.5, v6, v23
	v_fma_f32 v6, -0.5, v8, v30
	;; [unrolled: 1-line block ×3, first 2 shown]
	v_sub_f32_e32 v9, v1, v0
	v_sub_f32_e32 v11, v31, v32
	v_add_f32_e32 v1, v3, v1
	v_add_f32_e32 v16, v30, v31
	;; [unrolled: 1-line block ×3, first 2 shown]
	v_fma_f32 v12, -0.5, v14, v2
	v_add_f32_e32 v2, v13, v17
	v_mov_b32_e32 v17, v8
	v_add_f32_e32 v13, v16, v32
	v_mov_b32_e32 v16, v6
	v_fmac_f32_e32 v8, 0x3f5db3d7, v11
	v_mov_b32_e32 v23, v12
	v_fmac_f32_e32 v17, 0xbf5db3d7, v11
	v_add_f32_e32 v10, v1, v0
	v_mov_b32_e32 v14, v20
	v_fmac_f32_e32 v6, 0xbf5db3d7, v9
	v_fmac_f32_e32 v12, 0xbf5db3d7, v15
	v_sub_f32_e32 v0, v2, v13
	v_add_f32_e32 v2, v2, v13
	v_fmac_f32_e32 v16, 0x3f5db3d7, v9
	v_mul_f32_e32 v9, 0.5, v8
	v_fmac_f32_e32 v23, 0x3f5db3d7, v15
	v_mul_f32_e32 v8, 0xbf5db3d7, v8
	v_mul_f32_e32 v13, -0.5, v17
	v_mul_f32_e32 v15, 0xbf5db3d7, v17
	v_fmac_f32_e32 v14, 0xbf5db3d7, v7
	v_fmac_f32_e32 v8, 0.5, v6
	v_fmac_f32_e32 v13, 0x3f5db3d7, v16
	v_fmac_f32_e32 v15, -0.5, v16
	v_sub_f32_e32 v1, v3, v10
	v_add_f32_e32 v3, v3, v10
	v_fmac_f32_e32 v9, 0x3f5db3d7, v6
	v_sub_f32_e32 v6, v12, v8
	v_add_f32_e32 v8, v12, v8
	v_sub_f32_e32 v11, v14, v13
	v_sub_f32_e32 v10, v23, v15
	v_add_f32_e32 v13, v14, v13
	v_add_f32_e32 v12, v23, v15
	v_lshlrev_b64 v[14:15], 3, v[18:19]
	v_fmac_f32_e32 v20, 0x3f5db3d7, v7
	v_sub_f32_e32 v7, v20, v9
	v_add_f32_e32 v9, v20, v9
	v_mov_b32_e32 v16, s11
	v_add_co_u32_e32 v18, vcc, s10, v14
	v_or_b32_e32 v20, 0x100, v41
	v_addc_co_u32_e32 v19, vcc, v16, v15, vcc
	v_mad_u64_u32 v[16:17], s[0:1], s2, v20, 0
	v_lshlrev_b64 v[14:15], 3, v[21:22]
	v_add_co_u32_e32 v18, vcc, v18, v14
	v_mov_b32_e32 v14, v17
	v_addc_co_u32_e32 v19, vcc, v19, v15, vcc
	v_mad_u64_u32 v[14:15], s[0:1], s3, v20, v[14:15]
	v_add_co_u32_e32 v4, vcc, v18, v4
	v_addc_co_u32_e32 v5, vcc, v19, v5, vcc
	v_mov_b32_e32 v17, v14
	v_or_b32_e32 v14, 0x200, v41
	global_store_dwordx2 v[4:5], v[2:3], off
	v_mad_u64_u32 v[4:5], s[0:1], s2, v14, 0
	v_lshlrev_b64 v[2:3], 3, v[16:17]
	v_or_b32_e32 v17, 0x300, v41
	v_mad_u64_u32 v[14:15], s[0:1], s3, v14, v[5:6]
	v_mad_u64_u32 v[15:16], s[0:1], s2, v17, 0
	v_add_co_u32_e32 v2, vcc, v18, v2
	v_addc_co_u32_e32 v3, vcc, v19, v3, vcc
	v_mov_b32_e32 v5, v14
	global_store_dwordx2 v[2:3], v[8:9], off
	v_lshlrev_b64 v[2:3], 3, v[4:5]
	v_mov_b32_e32 v4, v16
	v_mad_u64_u32 v[4:5], s[0:1], s3, v17, v[4:5]
	v_or_b32_e32 v8, 0x400, v41
	v_add_co_u32_e32 v2, vcc, v18, v2
	v_mov_b32_e32 v16, v4
	v_mad_u64_u32 v[4:5], s[0:1], s2, v8, 0
	v_addc_co_u32_e32 v3, vcc, v19, v3, vcc
	v_mad_u64_u32 v[8:9], s[0:1], s3, v8, v[5:6]
	v_or_b32_e32 v9, 0x500, v41
	global_store_dwordx2 v[2:3], v[12:13], off
	v_lshlrev_b64 v[2:3], 3, v[15:16]
	v_mad_u64_u32 v[12:13], s[0:1], s2, v9, 0
	v_add_co_u32_e32 v2, vcc, v18, v2
	v_addc_co_u32_e32 v3, vcc, v19, v3, vcc
	global_store_dwordx2 v[2:3], v[0:1], off
	v_mov_b32_e32 v2, v13
	v_mov_b32_e32 v5, v8
	v_mad_u64_u32 v[2:3], s[0:1], s3, v9, v[2:3]
	v_lshlrev_b64 v[0:1], 3, v[4:5]
	v_add_co_u32_e32 v0, vcc, v18, v0
	v_addc_co_u32_e32 v1, vcc, v19, v1, vcc
	v_mov_b32_e32 v13, v2
	global_store_dwordx2 v[0:1], v[6:7], off
	v_lshlrev_b64 v[0:1], 3, v[12:13]
	v_add_co_u32_e32 v0, vcc, v18, v0
	v_addc_co_u32_e32 v1, vcc, v19, v1, vcc
	global_store_dwordx2 v[0:1], v[10:11], off
.LBB0_27:
	s_endpgm
	.section	.rodata,"a",@progbits
	.p2align	6, 0x0
	.amdhsa_kernel fft_rtc_back_len1536_factors_16_16_6_wgs_256_tpt_256_halfLds_sp_op_CI_CI_sbrr_dirReg
		.amdhsa_group_segment_fixed_size 0
		.amdhsa_private_segment_fixed_size 0
		.amdhsa_kernarg_size 104
		.amdhsa_user_sgpr_count 6
		.amdhsa_user_sgpr_private_segment_buffer 1
		.amdhsa_user_sgpr_dispatch_ptr 0
		.amdhsa_user_sgpr_queue_ptr 0
		.amdhsa_user_sgpr_kernarg_segment_ptr 1
		.amdhsa_user_sgpr_dispatch_id 0
		.amdhsa_user_sgpr_flat_scratch_init 0
		.amdhsa_user_sgpr_private_segment_size 0
		.amdhsa_uses_dynamic_stack 0
		.amdhsa_system_sgpr_private_segment_wavefront_offset 0
		.amdhsa_system_sgpr_workgroup_id_x 1
		.amdhsa_system_sgpr_workgroup_id_y 0
		.amdhsa_system_sgpr_workgroup_id_z 0
		.amdhsa_system_sgpr_workgroup_info 0
		.amdhsa_system_vgpr_workitem_id 0
		.amdhsa_next_free_vgpr 65
		.amdhsa_next_free_sgpr 32
		.amdhsa_reserve_vcc 1
		.amdhsa_reserve_flat_scratch 0
		.amdhsa_float_round_mode_32 0
		.amdhsa_float_round_mode_16_64 0
		.amdhsa_float_denorm_mode_32 3
		.amdhsa_float_denorm_mode_16_64 3
		.amdhsa_dx10_clamp 1
		.amdhsa_ieee_mode 1
		.amdhsa_fp16_overflow 0
		.amdhsa_exception_fp_ieee_invalid_op 0
		.amdhsa_exception_fp_denorm_src 0
		.amdhsa_exception_fp_ieee_div_zero 0
		.amdhsa_exception_fp_ieee_overflow 0
		.amdhsa_exception_fp_ieee_underflow 0
		.amdhsa_exception_fp_ieee_inexact 0
		.amdhsa_exception_int_div_zero 0
	.end_amdhsa_kernel
	.text
.Lfunc_end0:
	.size	fft_rtc_back_len1536_factors_16_16_6_wgs_256_tpt_256_halfLds_sp_op_CI_CI_sbrr_dirReg, .Lfunc_end0-fft_rtc_back_len1536_factors_16_16_6_wgs_256_tpt_256_halfLds_sp_op_CI_CI_sbrr_dirReg
                                        ; -- End function
	.section	.AMDGPU.csdata,"",@progbits
; Kernel info:
; codeLenInByte = 6476
; NumSgprs: 36
; NumVgprs: 65
; ScratchSize: 0
; MemoryBound: 0
; FloatMode: 240
; IeeeMode: 1
; LDSByteSize: 0 bytes/workgroup (compile time only)
; SGPRBlocks: 4
; VGPRBlocks: 16
; NumSGPRsForWavesPerEU: 36
; NumVGPRsForWavesPerEU: 65
; Occupancy: 3
; WaveLimiterHint : 1
; COMPUTE_PGM_RSRC2:SCRATCH_EN: 0
; COMPUTE_PGM_RSRC2:USER_SGPR: 6
; COMPUTE_PGM_RSRC2:TRAP_HANDLER: 0
; COMPUTE_PGM_RSRC2:TGID_X_EN: 1
; COMPUTE_PGM_RSRC2:TGID_Y_EN: 0
; COMPUTE_PGM_RSRC2:TGID_Z_EN: 0
; COMPUTE_PGM_RSRC2:TIDIG_COMP_CNT: 0
	.type	__hip_cuid_fd6f129cfc75132e,@object ; @__hip_cuid_fd6f129cfc75132e
	.section	.bss,"aw",@nobits
	.globl	__hip_cuid_fd6f129cfc75132e
__hip_cuid_fd6f129cfc75132e:
	.byte	0                               ; 0x0
	.size	__hip_cuid_fd6f129cfc75132e, 1

	.ident	"AMD clang version 19.0.0git (https://github.com/RadeonOpenCompute/llvm-project roc-6.4.0 25133 c7fe45cf4b819c5991fe208aaa96edf142730f1d)"
	.section	".note.GNU-stack","",@progbits
	.addrsig
	.addrsig_sym __hip_cuid_fd6f129cfc75132e
	.amdgpu_metadata
---
amdhsa.kernels:
  - .args:
      - .actual_access:  read_only
        .address_space:  global
        .offset:         0
        .size:           8
        .value_kind:     global_buffer
      - .offset:         8
        .size:           8
        .value_kind:     by_value
      - .actual_access:  read_only
        .address_space:  global
        .offset:         16
        .size:           8
        .value_kind:     global_buffer
      - .actual_access:  read_only
        .address_space:  global
        .offset:         24
        .size:           8
        .value_kind:     global_buffer
      - .actual_access:  read_only
        .address_space:  global
        .offset:         32
        .size:           8
        .value_kind:     global_buffer
      - .offset:         40
        .size:           8
        .value_kind:     by_value
      - .actual_access:  read_only
        .address_space:  global
        .offset:         48
        .size:           8
        .value_kind:     global_buffer
      - .actual_access:  read_only
        .address_space:  global
        .offset:         56
        .size:           8
        .value_kind:     global_buffer
      - .offset:         64
        .size:           4
        .value_kind:     by_value
      - .actual_access:  read_only
        .address_space:  global
        .offset:         72
        .size:           8
        .value_kind:     global_buffer
      - .actual_access:  read_only
        .address_space:  global
        .offset:         80
        .size:           8
        .value_kind:     global_buffer
      - .actual_access:  read_only
        .address_space:  global
        .offset:         88
        .size:           8
        .value_kind:     global_buffer
      - .actual_access:  write_only
        .address_space:  global
        .offset:         96
        .size:           8
        .value_kind:     global_buffer
    .group_segment_fixed_size: 0
    .kernarg_segment_align: 8
    .kernarg_segment_size: 104
    .language:       OpenCL C
    .language_version:
      - 2
      - 0
    .max_flat_workgroup_size: 256
    .name:           fft_rtc_back_len1536_factors_16_16_6_wgs_256_tpt_256_halfLds_sp_op_CI_CI_sbrr_dirReg
    .private_segment_fixed_size: 0
    .sgpr_count:     36
    .sgpr_spill_count: 0
    .symbol:         fft_rtc_back_len1536_factors_16_16_6_wgs_256_tpt_256_halfLds_sp_op_CI_CI_sbrr_dirReg.kd
    .uniform_work_group_size: 1
    .uses_dynamic_stack: false
    .vgpr_count:     65
    .vgpr_spill_count: 0
    .wavefront_size: 64
amdhsa.target:   amdgcn-amd-amdhsa--gfx906
amdhsa.version:
  - 1
  - 2
...

	.end_amdgpu_metadata
